;; amdgpu-corpus repo=ROCm/rocFFT kind=compiled arch=gfx906 opt=O3
	.text
	.amdgcn_target "amdgcn-amd-amdhsa--gfx906"
	.amdhsa_code_object_version 6
	.protected	fft_rtc_fwd_len540_factors_3_10_6_3_wgs_216_tpt_54_halfLds_half_ip_CI_sbrr_dirReg ; -- Begin function fft_rtc_fwd_len540_factors_3_10_6_3_wgs_216_tpt_54_halfLds_half_ip_CI_sbrr_dirReg
	.globl	fft_rtc_fwd_len540_factors_3_10_6_3_wgs_216_tpt_54_halfLds_half_ip_CI_sbrr_dirReg
	.p2align	8
	.type	fft_rtc_fwd_len540_factors_3_10_6_3_wgs_216_tpt_54_halfLds_half_ip_CI_sbrr_dirReg,@function
fft_rtc_fwd_len540_factors_3_10_6_3_wgs_216_tpt_54_halfLds_half_ip_CI_sbrr_dirReg: ; @fft_rtc_fwd_len540_factors_3_10_6_3_wgs_216_tpt_54_halfLds_half_ip_CI_sbrr_dirReg
; %bb.0:
	s_load_dwordx2 s[2:3], s[4:5], 0x18
	s_load_dwordx4 s[8:11], s[4:5], 0x0
	s_load_dwordx2 s[14:15], s[4:5], 0x50
	v_mul_u32_u24_e32 v1, 0x4be, v0
	v_lshrrev_b32_e32 v9, 16, v1
	s_waitcnt lgkmcnt(0)
	s_load_dwordx2 s[12:13], s[2:3], 0x0
	v_cmp_lt_u64_e64 s[0:1], s[10:11], 2
	v_mov_b32_e32 v3, 0
	v_mov_b32_e32 v1, 0
	v_lshl_add_u32 v5, s6, 2, v9
	v_mov_b32_e32 v6, v3
	s_and_b64 vcc, exec, s[0:1]
	v_mov_b32_e32 v2, 0
	s_cbranch_vccnz .LBB0_8
; %bb.1:
	s_load_dwordx2 s[0:1], s[4:5], 0x10
	s_add_u32 s6, s2, 8
	s_addc_u32 s7, s3, 0
	v_mov_b32_e32 v1, 0
	v_mov_b32_e32 v2, 0
	s_waitcnt lgkmcnt(0)
	s_add_u32 s16, s0, 8
	s_addc_u32 s17, s1, 0
	s_mov_b64 s[18:19], 1
.LBB0_2:                                ; =>This Inner Loop Header: Depth=1
	s_load_dwordx2 s[20:21], s[16:17], 0x0
                                        ; implicit-def: $vgpr7_vgpr8
	s_waitcnt lgkmcnt(0)
	v_or_b32_e32 v4, s21, v6
	v_cmp_ne_u64_e32 vcc, 0, v[3:4]
	s_and_saveexec_b64 s[0:1], vcc
	s_xor_b64 s[22:23], exec, s[0:1]
	s_cbranch_execz .LBB0_4
; %bb.3:                                ;   in Loop: Header=BB0_2 Depth=1
	v_cvt_f32_u32_e32 v4, s20
	v_cvt_f32_u32_e32 v7, s21
	s_sub_u32 s0, 0, s20
	s_subb_u32 s1, 0, s21
	v_mac_f32_e32 v4, 0x4f800000, v7
	v_rcp_f32_e32 v4, v4
	v_mul_f32_e32 v4, 0x5f7ffffc, v4
	v_mul_f32_e32 v7, 0x2f800000, v4
	v_trunc_f32_e32 v7, v7
	v_mac_f32_e32 v4, 0xcf800000, v7
	v_cvt_u32_f32_e32 v7, v7
	v_cvt_u32_f32_e32 v4, v4
	v_mul_lo_u32 v8, s0, v7
	v_mul_hi_u32 v10, s0, v4
	v_mul_lo_u32 v12, s1, v4
	v_mul_lo_u32 v11, s0, v4
	v_add_u32_e32 v8, v10, v8
	v_add_u32_e32 v8, v8, v12
	v_mul_hi_u32 v10, v4, v11
	v_mul_lo_u32 v12, v4, v8
	v_mul_hi_u32 v14, v4, v8
	v_mul_hi_u32 v13, v7, v11
	v_mul_lo_u32 v11, v7, v11
	v_mul_hi_u32 v15, v7, v8
	v_add_co_u32_e32 v10, vcc, v10, v12
	v_addc_co_u32_e32 v12, vcc, 0, v14, vcc
	v_mul_lo_u32 v8, v7, v8
	v_add_co_u32_e32 v10, vcc, v10, v11
	v_addc_co_u32_e32 v10, vcc, v12, v13, vcc
	v_addc_co_u32_e32 v11, vcc, 0, v15, vcc
	v_add_co_u32_e32 v8, vcc, v10, v8
	v_addc_co_u32_e32 v10, vcc, 0, v11, vcc
	v_add_co_u32_e32 v4, vcc, v4, v8
	v_addc_co_u32_e32 v7, vcc, v7, v10, vcc
	v_mul_lo_u32 v8, s0, v7
	v_mul_hi_u32 v10, s0, v4
	v_mul_lo_u32 v11, s1, v4
	v_mul_lo_u32 v12, s0, v4
	v_add_u32_e32 v8, v10, v8
	v_add_u32_e32 v8, v8, v11
	v_mul_lo_u32 v13, v4, v8
	v_mul_hi_u32 v14, v4, v12
	v_mul_hi_u32 v15, v4, v8
	v_mul_hi_u32 v11, v7, v12
	v_mul_lo_u32 v12, v7, v12
	v_mul_hi_u32 v10, v7, v8
	v_add_co_u32_e32 v13, vcc, v14, v13
	v_addc_co_u32_e32 v14, vcc, 0, v15, vcc
	v_mul_lo_u32 v8, v7, v8
	v_add_co_u32_e32 v12, vcc, v13, v12
	v_addc_co_u32_e32 v11, vcc, v14, v11, vcc
	v_addc_co_u32_e32 v10, vcc, 0, v10, vcc
	v_add_co_u32_e32 v8, vcc, v11, v8
	v_addc_co_u32_e32 v10, vcc, 0, v10, vcc
	v_add_co_u32_e32 v4, vcc, v4, v8
	v_addc_co_u32_e32 v10, vcc, v7, v10, vcc
	v_mad_u64_u32 v[7:8], s[0:1], v5, v10, 0
	v_mul_hi_u32 v11, v5, v4
	v_add_co_u32_e32 v12, vcc, v11, v7
	v_addc_co_u32_e32 v13, vcc, 0, v8, vcc
	v_mad_u64_u32 v[7:8], s[0:1], v6, v4, 0
	v_mad_u64_u32 v[10:11], s[0:1], v6, v10, 0
	v_add_co_u32_e32 v4, vcc, v12, v7
	v_addc_co_u32_e32 v4, vcc, v13, v8, vcc
	v_addc_co_u32_e32 v7, vcc, 0, v11, vcc
	v_add_co_u32_e32 v4, vcc, v4, v10
	v_addc_co_u32_e32 v10, vcc, 0, v7, vcc
	v_mul_lo_u32 v11, s21, v4
	v_mul_lo_u32 v12, s20, v10
	v_mad_u64_u32 v[7:8], s[0:1], s20, v4, 0
	v_add3_u32 v8, v8, v12, v11
	v_sub_u32_e32 v11, v6, v8
	v_mov_b32_e32 v12, s21
	v_sub_co_u32_e32 v7, vcc, v5, v7
	v_subb_co_u32_e64 v11, s[0:1], v11, v12, vcc
	v_subrev_co_u32_e64 v12, s[0:1], s20, v7
	v_subbrev_co_u32_e64 v11, s[0:1], 0, v11, s[0:1]
	v_cmp_le_u32_e64 s[0:1], s21, v11
	v_cndmask_b32_e64 v13, 0, -1, s[0:1]
	v_cmp_le_u32_e64 s[0:1], s20, v12
	v_cndmask_b32_e64 v12, 0, -1, s[0:1]
	v_cmp_eq_u32_e64 s[0:1], s21, v11
	v_cndmask_b32_e64 v11, v13, v12, s[0:1]
	v_add_co_u32_e64 v12, s[0:1], 2, v4
	v_addc_co_u32_e64 v13, s[0:1], 0, v10, s[0:1]
	v_add_co_u32_e64 v14, s[0:1], 1, v4
	v_addc_co_u32_e64 v15, s[0:1], 0, v10, s[0:1]
	v_subb_co_u32_e32 v8, vcc, v6, v8, vcc
	v_cmp_ne_u32_e64 s[0:1], 0, v11
	v_cmp_le_u32_e32 vcc, s21, v8
	v_cndmask_b32_e64 v11, v15, v13, s[0:1]
	v_cndmask_b32_e64 v13, 0, -1, vcc
	v_cmp_le_u32_e32 vcc, s20, v7
	v_cndmask_b32_e64 v7, 0, -1, vcc
	v_cmp_eq_u32_e32 vcc, s21, v8
	v_cndmask_b32_e32 v7, v13, v7, vcc
	v_cmp_ne_u32_e32 vcc, 0, v7
	v_cndmask_b32_e64 v7, v14, v12, s[0:1]
	v_cndmask_b32_e32 v8, v10, v11, vcc
	v_cndmask_b32_e32 v7, v4, v7, vcc
.LBB0_4:                                ;   in Loop: Header=BB0_2 Depth=1
	s_andn2_saveexec_b64 s[0:1], s[22:23]
	s_cbranch_execz .LBB0_6
; %bb.5:                                ;   in Loop: Header=BB0_2 Depth=1
	v_cvt_f32_u32_e32 v4, s20
	s_sub_i32 s22, 0, s20
	v_rcp_iflag_f32_e32 v4, v4
	v_mul_f32_e32 v4, 0x4f7ffffe, v4
	v_cvt_u32_f32_e32 v4, v4
	v_mul_lo_u32 v7, s22, v4
	v_mul_hi_u32 v7, v4, v7
	v_add_u32_e32 v4, v4, v7
	v_mul_hi_u32 v4, v5, v4
	v_mul_lo_u32 v7, v4, s20
	v_add_u32_e32 v8, 1, v4
	v_sub_u32_e32 v7, v5, v7
	v_subrev_u32_e32 v10, s20, v7
	v_cmp_le_u32_e32 vcc, s20, v7
	v_cndmask_b32_e32 v7, v7, v10, vcc
	v_cndmask_b32_e32 v4, v4, v8, vcc
	v_add_u32_e32 v8, 1, v4
	v_cmp_le_u32_e32 vcc, s20, v7
	v_cndmask_b32_e32 v7, v4, v8, vcc
	v_mov_b32_e32 v8, v3
.LBB0_6:                                ;   in Loop: Header=BB0_2 Depth=1
	s_or_b64 exec, exec, s[0:1]
	v_mul_lo_u32 v4, v8, s20
	v_mul_lo_u32 v12, v7, s21
	v_mad_u64_u32 v[10:11], s[0:1], v7, s20, 0
	s_load_dwordx2 s[0:1], s[6:7], 0x0
	s_add_u32 s18, s18, 1
	v_add3_u32 v4, v11, v12, v4
	v_sub_co_u32_e32 v5, vcc, v5, v10
	v_subb_co_u32_e32 v4, vcc, v6, v4, vcc
	s_waitcnt lgkmcnt(0)
	v_mul_lo_u32 v4, s0, v4
	v_mul_lo_u32 v6, s1, v5
	v_mad_u64_u32 v[1:2], s[0:1], s0, v5, v[1:2]
	s_addc_u32 s19, s19, 0
	s_add_u32 s6, s6, 8
	v_add3_u32 v2, v6, v2, v4
	v_mov_b32_e32 v4, s10
	v_mov_b32_e32 v5, s11
	s_addc_u32 s7, s7, 0
	v_cmp_ge_u64_e32 vcc, s[18:19], v[4:5]
	s_add_u32 s16, s16, 8
	s_addc_u32 s17, s17, 0
	s_cbranch_vccnz .LBB0_9
; %bb.7:                                ;   in Loop: Header=BB0_2 Depth=1
	v_mov_b32_e32 v5, v7
	v_mov_b32_e32 v6, v8
	s_branch .LBB0_2
.LBB0_8:
	v_mov_b32_e32 v8, v6
	v_mov_b32_e32 v7, v5
.LBB0_9:
	s_lshl_b64 s[0:1], s[10:11], 3
	s_add_u32 s0, s2, s0
	s_addc_u32 s1, s3, s1
	s_load_dwordx2 s[2:3], s[0:1], 0x0
	s_load_dwordx2 s[6:7], s[4:5], 0x20
	s_waitcnt lgkmcnt(0)
	v_mad_u64_u32 v[1:2], s[0:1], s2, v7, v[1:2]
	s_mov_b32 s0, 0x4bda130
	v_mul_lo_u32 v3, s2, v8
	v_mul_lo_u32 v4, s3, v7
	v_mul_hi_u32 v5, v0, s0
	v_cmp_gt_u64_e32 vcc, s[6:7], v[7:8]
	v_cmp_le_u64_e64 s[0:1], s[6:7], v[7:8]
	v_add3_u32 v2, v4, v2, v3
	v_mul_u32_u24_e32 v3, 54, v5
	v_sub_u32_e32 v5, v0, v3
	v_add_u32_e32 v6, 54, v5
                                        ; implicit-def: $vgpr8
                                        ; implicit-def: $vgpr3
	s_and_saveexec_b64 s[2:3], s[0:1]
	s_xor_b64 s[0:1], exec, s[2:3]
; %bb.10:
	v_add_u32_e32 v8, 54, v5
	v_add_u32_e32 v3, 0x6c, v5
; %bb.11:
	s_or_saveexec_b64 s[2:3], s[0:1]
	v_lshlrev_b64 v[0:1], 2, v[1:2]
                                        ; implicit-def: $vgpr19
                                        ; implicit-def: $vgpr22
                                        ; implicit-def: $vgpr18
                                        ; implicit-def: $vgpr21
                                        ; implicit-def: $vgpr17
                                        ; implicit-def: $vgpr23
                                        ; implicit-def: $vgpr25
                                        ; implicit-def: $vgpr11
                                        ; implicit-def: $vgpr26
                                        ; implicit-def: $vgpr2
                                        ; implicit-def: $vgpr24
                                        ; implicit-def: $vgpr16
                                        ; implicit-def: $vgpr28
                                        ; implicit-def: $vgpr7
                                        ; implicit-def: $vgpr29
                                        ; implicit-def: $vgpr10
                                        ; implicit-def: $vgpr27
                                        ; implicit-def: $vgpr20
                                        ; implicit-def: $vgpr31
                                        ; implicit-def: $vgpr12
                                        ; implicit-def: $vgpr32
                                        ; implicit-def: $vgpr15
                                        ; implicit-def: $vgpr30
                                        ; implicit-def: $vgpr4
	s_xor_b64 exec, exec, s[2:3]
	s_cbranch_execz .LBB0_15
; %bb.12:
	v_mad_u64_u32 v[2:3], s[0:1], s12, v5, 0
	v_add_u32_e32 v12, 0xb4, v5
	v_mad_u64_u32 v[10:11], s[0:1], s12, v12, 0
	v_mad_u64_u32 v[3:4], s[0:1], s13, v5, v[3:4]
	v_mov_b32_e32 v7, s15
	v_add_co_u32_e64 v8, s[0:1], s14, v0
	v_addc_co_u32_e64 v13, s[0:1], v7, v1, s[0:1]
	v_add_u32_e32 v7, 0x168, v5
	v_mov_b32_e32 v4, v11
	v_mad_u64_u32 v[14:15], s[0:1], s12, v7, 0
	v_mad_u64_u32 v[11:12], s[0:1], s13, v12, v[4:5]
	v_lshlrev_b64 v[2:3], 2, v[2:3]
	v_mov_b32_e32 v4, v15
	v_add_co_u32_e64 v17, s[0:1], v8, v2
	v_addc_co_u32_e64 v18, s[0:1], v13, v3, s[0:1]
	v_lshlrev_b64 v[2:3], 2, v[10:11]
	v_mad_u64_u32 v[10:11], s[0:1], s13, v7, v[4:5]
	v_mad_u64_u32 v[11:12], s[0:1], s12, v6, 0
	v_add_co_u32_e64 v21, s[0:1], v8, v2
	v_mov_b32_e32 v15, v10
	v_mov_b32_e32 v4, v12
	v_addc_co_u32_e64 v22, s[0:1], v13, v3, s[0:1]
	v_lshlrev_b64 v[2:3], 2, v[14:15]
	v_mad_u64_u32 v[14:15], s[0:1], s13, v6, v[4:5]
	v_add_u32_e32 v7, 0xea, v5
	v_mad_u64_u32 v[15:16], s[0:1], s12, v7, 0
	v_add_co_u32_e64 v23, s[0:1], v8, v2
	v_mov_b32_e32 v12, v14
	v_mov_b32_e32 v4, v16
	v_addc_co_u32_e64 v24, s[0:1], v13, v3, s[0:1]
	v_lshlrev_b64 v[2:3], 2, v[11:12]
	v_mad_u64_u32 v[10:11], s[0:1], s13, v7, v[4:5]
	v_add_u32_e32 v4, 0x19e, v5
	v_mad_u64_u32 v[11:12], s[0:1], s12, v4, 0
	v_add_co_u32_e64 v25, s[0:1], v8, v2
	v_mov_b32_e32 v2, v12
	v_addc_co_u32_e64 v26, s[0:1], v13, v3, s[0:1]
	v_mad_u64_u32 v[2:3], s[0:1], s13, v4, v[2:3]
	v_add_u32_e32 v3, 0x6c, v5
	v_mad_u64_u32 v[19:20], s[0:1], s12, v3, 0
	v_mov_b32_e32 v16, v10
	v_lshlrev_b64 v[14:15], 2, v[15:16]
	v_mov_b32_e32 v12, v2
	v_add_co_u32_e64 v27, s[0:1], v8, v14
	v_mov_b32_e32 v2, v20
	v_addc_co_u32_e64 v28, s[0:1], v13, v15, s[0:1]
	v_mad_u64_u32 v[14:15], s[0:1], s13, v3, v[2:3]
	v_add_u32_e32 v4, 0x120, v5
	v_mad_u64_u32 v[15:16], s[0:1], s12, v4, 0
	v_lshlrev_b64 v[10:11], 2, v[11:12]
	v_mov_b32_e32 v20, v14
	v_add_co_u32_e64 v29, s[0:1], v8, v10
	v_mov_b32_e32 v2, v16
	v_addc_co_u32_e64 v30, s[0:1], v13, v11, s[0:1]
	v_lshlrev_b64 v[10:11], 2, v[19:20]
	v_mad_u64_u32 v[19:20], s[0:1], s13, v4, v[2:3]
	v_add_co_u32_e64 v31, s[0:1], v8, v10
	v_add_u32_e32 v4, 0x1d4, v5
	v_addc_co_u32_e64 v32, s[0:1], v13, v11, s[0:1]
	v_mad_u64_u32 v[33:34], s[0:1], s12, v4, 0
	v_mov_b32_e32 v16, v19
	v_lshlrev_b64 v[10:11], 2, v[15:16]
	v_mov_b32_e32 v2, v34
	v_add_co_u32_e64 v35, s[0:1], v8, v10
	v_addc_co_u32_e64 v36, s[0:1], v13, v11, s[0:1]
	v_mad_u64_u32 v[11:12], s[0:1], s13, v4, v[2:3]
	global_load_dword v4, v[17:18], off
	global_load_dword v15, v[21:22], off
	;; [unrolled: 1-line block ×8, first 2 shown]
                                        ; implicit-def: $vgpr23
                                        ; implicit-def: $vgpr21
                                        ; implicit-def: $vgpr22
                                        ; implicit-def: $vgpr19
	v_mov_b32_e32 v34, v11
	v_lshlrev_b64 v[17:18], 2, v[33:34]
	v_add_co_u32_e64 v17, s[0:1], v8, v17
	v_addc_co_u32_e64 v18, s[0:1], v13, v18, s[0:1]
	global_load_dword v11, v[17:18], off
	v_cmp_gt_u32_e64 s[0:1], 18, v5
                                        ; implicit-def: $vgpr17
                                        ; implicit-def: $vgpr18
	s_and_saveexec_b64 s[4:5], s[0:1]
	s_cbranch_execz .LBB0_14
; %bb.13:
	v_add_u32_e32 v19, 0xa2, v5
	v_mad_u64_u32 v[17:18], s[0:1], s12, v19, 0
	v_add_u32_e32 v23, 0x156, v5
	v_mad_u64_u32 v[21:22], s[0:1], s12, v23, 0
	v_mov_b32_e32 v14, v18
	s_waitcnt vmcnt(7)
	v_mad_u64_u32 v[18:19], s[0:1], s13, v19, v[14:15]
	v_mov_b32_e32 v14, v22
	v_mad_u64_u32 v[22:23], s[0:1], s13, v23, v[14:15]
	v_add_u32_e32 v19, 0x20a, v5
	v_mad_u64_u32 v[23:24], s[0:1], s12, v19, 0
	v_lshlrev_b64 v[17:18], 2, v[17:18]
	v_lshlrev_b64 v[21:22], 2, v[21:22]
	v_add_co_u32_e64 v17, s[0:1], v8, v17
	v_mov_b32_e32 v14, v24
	v_addc_co_u32_e64 v18, s[0:1], v13, v18, s[0:1]
	v_mad_u64_u32 v[24:25], s[0:1], s13, v19, v[14:15]
	v_add_co_u32_e64 v25, s[0:1], v8, v21
	v_addc_co_u32_e64 v26, s[0:1], v13, v22, s[0:1]
	v_lshlrev_b64 v[21:22], 2, v[23:24]
	v_add_co_u32_e64 v27, s[0:1], v8, v21
	v_addc_co_u32_e64 v28, s[0:1], v13, v22, s[0:1]
	global_load_dword v23, v[17:18], off
	global_load_dword v21, v[25:26], off
	;; [unrolled: 1-line block ×3, first 2 shown]
	s_waitcnt vmcnt(2)
	v_lshrrev_b32_e32 v17, 16, v23
	s_waitcnt vmcnt(1)
	v_lshrrev_b32_e32 v18, 16, v21
	;; [unrolled: 2-line block ×3, first 2 shown]
.LBB0_14:
	s_or_b64 exec, exec, s[4:5]
	s_waitcnt vmcnt(8)
	v_lshrrev_b32_e32 v30, 16, v4
	s_waitcnt vmcnt(7)
	v_lshrrev_b32_e32 v32, 16, v15
	;; [unrolled: 2-line block ×9, first 2 shown]
	v_mov_b32_e32 v8, v6
.LBB0_15:
	s_or_b64 exec, exec, s[2:3]
	v_add_f16_e32 v13, v12, v15
	v_fma_f16 v13, v13, -0.5, v4
	v_sub_f16_e32 v14, v32, v31
	s_movk_i32 s4, 0x3aee
	s_mov_b32 s5, 0xbaee
	v_fma_f16 v34, v14, s4, v13
	v_fma_f16 v35, v14, s5, v13
	v_add_f16_e32 v13, v7, v10
	v_fma_f16 v13, v13, -0.5, v20
	v_sub_f16_e32 v14, v29, v28
	v_fma_f16 v38, v14, s4, v13
	v_fma_f16 v39, v14, s5, v13
	v_add_f16_e32 v13, v11, v2
	v_fma_f16 v13, v13, -0.5, v16
	v_sub_f16_e32 v14, v26, v25
	v_and_b32_e32 v9, 3, v9
	v_fma_f16 v40, v14, s4, v13
	v_fma_f16 v41, v14, s5, v13
	v_add_f16_e32 v13, v22, v21
	v_mul_u32_u24_e32 v36, 0x21c, v9
	v_add_f16_e32 v4, v15, v4
	v_fma_f16 v13, v13, -0.5, v23
	v_sub_f16_e32 v33, v18, v19
	v_add_f16_e32 v9, v12, v4
	v_mad_u32_u24 v37, v5, 6, 0
	v_lshlrev_b32_e32 v4, 1, v36
	v_fma_f16 v14, v33, s4, v13
	v_fma_f16 v13, v33, s5, v13
	v_add_u32_e32 v33, v37, v4
	ds_write_b16 v33, v9
	ds_write_b16 v33, v34 offset:2
	ds_write_b16 v33, v35 offset:4
	v_add_f16_e32 v9, v10, v20
	v_add_f16_e32 v20, v7, v9
	v_mad_i32_i24 v9, v8, 6, 0
	v_add_u32_e32 v34, v9, v4
	ds_write_b16 v34, v20
	ds_write_b16 v34, v38 offset:2
	ds_write_b16 v34, v39 offset:4
	v_add_f16_e32 v16, v2, v16
	v_mad_i32_i24 v20, v3, 6, 0
	v_add_f16_e32 v16, v11, v16
	v_add_u32_e32 v35, v20, v4
	v_cmp_gt_u32_e64 s[0:1], 18, v5
	ds_write_b16 v35, v16
	ds_write_b16 v35, v40 offset:2
	ds_write_b16 v35, v41 offset:4
	s_and_saveexec_b64 s[2:3], s[0:1]
	s_cbranch_execz .LBB0_17
; %bb.16:
	v_add_f16_e32 v16, v21, v23
	v_add_f16_e32 v16, v22, v16
	v_lshl_add_u32 v23, v36, 1, v37
	ds_write_b16 v23, v16 offset:972
	ds_write_b16 v23, v14 offset:974
	;; [unrolled: 1-line block ×3, first 2 shown]
.LBB0_17:
	s_or_b64 exec, exec, s[2:3]
	v_add_f16_e32 v16, v32, v30
	v_add_f16_e32 v36, v31, v16
	v_add_f16_e32 v16, v31, v32
	v_fma_f16 v16, v16, -0.5, v30
	v_sub_f16_e32 v12, v15, v12
	v_fma_f16 v32, v12, s5, v16
	v_fma_f16 v37, v12, s4, v16
	v_add_f16_e32 v12, v29, v27
	v_add_f16_e32 v38, v28, v12
	v_add_f16_e32 v12, v28, v29
	v_fma_f16 v12, v12, -0.5, v27
	v_sub_f16_e32 v7, v10, v7
	v_fma_f16 v29, v7, s5, v12
	v_fma_f16 v39, v7, s4, v12
	;; [unrolled: 7-line block ×3, first 2 shown]
	v_add_f16_e32 v2, v19, v18
	v_lshlrev_b32_e32 v10, 2, v8
	v_fma_f16 v2, v2, -0.5, v17
	v_sub_f16_e32 v7, v21, v22
	v_sub_u32_e32 v9, v9, v10
	v_fma_f16 v16, v7, s5, v2
	v_fma_f16 v15, v7, s4, v2
	v_lshlrev_b32_e32 v2, 1, v5
	v_add_u32_e32 v12, v9, v4
	v_lshlrev_b32_e32 v9, 2, v3
	v_add3_u32 v11, 0, v4, v2
	v_sub_u32_e32 v9, v20, v9
	s_waitcnt lgkmcnt(0)
	s_barrier
	v_add_u32_e32 v10, v9, v4
	v_add3_u32 v9, 0, v2, v4
	ds_read_u16 v20, v11
	ds_read_u16 v21, v12
	;; [unrolled: 1-line block ×3, first 2 shown]
	ds_read_u16 v22, v9 offset:324
	ds_read_u16 v24, v9 offset:432
	;; [unrolled: 1-line block ×7, first 2 shown]
	v_add_u32_e32 v7, 0xa2, v5
	s_waitcnt lgkmcnt(0)
	s_barrier
	ds_write_b16 v33, v36
	ds_write_b16 v33, v32 offset:2
	ds_write_b16 v33, v37 offset:4
	ds_write_b16 v34, v38
	ds_write_b16 v34, v29 offset:2
	ds_write_b16 v34, v39 offset:4
	;; [unrolled: 3-line block ×3, first 2 shown]
	s_and_saveexec_b64 s[2:3], s[0:1]
	s_cbranch_execz .LBB0_19
; %bb.18:
	v_add_f16_e32 v17, v18, v17
	v_mul_u32_u24_e32 v18, 6, v7
	v_add_f16_e32 v17, v19, v17
	v_add3_u32 v18, 0, v18, v4
	ds_write_b16 v18, v17
	ds_write_b16 v18, v16 offset:2
	ds_write_b16 v18, v15 offset:4
.LBB0_19:
	s_or_b64 exec, exec, s[2:3]
	s_movk_i32 s2, 0xab
	v_mul_lo_u16_sdwa v17, v5, s2 dst_sel:DWORD dst_unused:UNUSED_PAD src0_sel:BYTE_0 src1_sel:DWORD
	v_lshrrev_b16_e32 v42, 9, v17
	v_mul_lo_u16_e32 v17, 3, v42
	v_sub_u16_e32 v43, v5, v17
	v_mov_b32_e32 v17, 9
	v_mul_u32_u24_sdwa v17, v43, v17 dst_sel:DWORD dst_unused:UNUSED_PAD src0_sel:BYTE_0 src1_sel:DWORD
	v_lshlrev_b32_e32 v17, 2, v17
	s_waitcnt lgkmcnt(0)
	s_barrier
	global_load_dwordx4 v[32:35], v17, s[8:9]
	global_load_dwordx4 v[36:39], v17, s[8:9] offset:16
	global_load_dword v18, v17, s[8:9] offset:32
	ds_read_u16 v17, v12
	ds_read_u16 v19, v10
	ds_read_u16 v29, v9 offset:324
	ds_read_u16 v40, v9 offset:432
	;; [unrolled: 1-line block ×7, first 2 shown]
	s_movk_i32 s16, 0x3b9c
	s_mov_b32 s7, 0xbb9c
	s_movk_i32 s11, 0x38b4
	s_mov_b32 s6, 0xb8b4
	s_movk_i32 s10, 0x34f2
	s_movk_i32 s17, 0x3a79
	v_mad_u32_u24 v42, v42, 60, 0
	v_cmp_gt_u32_e64 s[2:3], 36, v5
	s_waitcnt vmcnt(2) lgkmcnt(8)
	v_mul_f16_sdwa v26, v17, v32 dst_sel:DWORD dst_unused:UNUSED_PAD src0_sel:DWORD src1_sel:WORD_1
	v_fma_f16 v48, v21, v32, -v26
	v_mul_f16_sdwa v21, v21, v32 dst_sel:DWORD dst_unused:UNUSED_PAD src0_sel:DWORD src1_sel:WORD_1
	v_fma_f16 v21, v17, v32, v21
	s_waitcnt lgkmcnt(7)
	v_mul_f16_sdwa v17, v19, v33 dst_sel:DWORD dst_unused:UNUSED_PAD src0_sel:DWORD src1_sel:WORD_1
	v_fma_f16 v26, v23, v33, -v17
	v_mul_f16_sdwa v17, v23, v33 dst_sel:DWORD dst_unused:UNUSED_PAD src0_sel:DWORD src1_sel:WORD_1
	v_fma_f16 v23, v19, v33, v17
	s_waitcnt lgkmcnt(6)
	v_mul_f16_sdwa v17, v29, v34 dst_sel:DWORD dst_unused:UNUSED_PAD src0_sel:DWORD src1_sel:WORD_1
	v_mul_f16_sdwa v19, v22, v34 dst_sel:DWORD dst_unused:UNUSED_PAD src0_sel:DWORD src1_sel:WORD_1
	v_fma_f16 v17, v22, v34, -v17
	v_fma_f16 v22, v29, v34, v19
	s_waitcnt lgkmcnt(5)
	v_mul_f16_sdwa v19, v40, v35 dst_sel:DWORD dst_unused:UNUSED_PAD src0_sel:DWORD src1_sel:WORD_1
	v_fma_f16 v29, v24, v35, -v19
	v_mul_f16_sdwa v19, v24, v35 dst_sel:DWORD dst_unused:UNUSED_PAD src0_sel:DWORD src1_sel:WORD_1
	v_fma_f16 v24, v40, v35, v19
	s_waitcnt vmcnt(1) lgkmcnt(4)
	v_mul_f16_sdwa v19, v41, v36 dst_sel:DWORD dst_unused:UNUSED_PAD src0_sel:DWORD src1_sel:WORD_1
	v_mul_f16_sdwa v32, v25, v36 dst_sel:DWORD dst_unused:UNUSED_PAD src0_sel:DWORD src1_sel:WORD_1
	s_waitcnt lgkmcnt(3)
	v_mul_f16_sdwa v33, v44, v37 dst_sel:DWORD dst_unused:UNUSED_PAD src0_sel:DWORD src1_sel:WORD_1
	v_mul_f16_sdwa v34, v30, v37 dst_sel:DWORD dst_unused:UNUSED_PAD src0_sel:DWORD src1_sel:WORD_1
	s_waitcnt lgkmcnt(2)
	v_mul_f16_sdwa v35, v45, v38 dst_sel:DWORD dst_unused:UNUSED_PAD src0_sel:DWORD src1_sel:WORD_1
	v_fma_f16 v19, v25, v36, -v19
	v_fma_f16 v25, v41, v36, v32
	s_waitcnt lgkmcnt(1)
	v_mul_f16_sdwa v36, v46, v39 dst_sel:DWORD dst_unused:UNUSED_PAD src0_sel:DWORD src1_sel:WORD_1
	v_mul_f16_sdwa v40, v27, v38 dst_sel:DWORD dst_unused:UNUSED_PAD src0_sel:DWORD src1_sel:WORD_1
	v_fma_f16 v32, v30, v37, -v33
	v_mul_f16_sdwa v41, v31, v39 dst_sel:DWORD dst_unused:UNUSED_PAD src0_sel:DWORD src1_sel:WORD_1
	v_fma_f16 v30, v44, v37, v34
	s_waitcnt vmcnt(0) lgkmcnt(0)
	v_mul_f16_sdwa v34, v47, v18 dst_sel:DWORD dst_unused:UNUSED_PAD src0_sel:DWORD src1_sel:WORD_1
	v_fma_f16 v44, v27, v38, -v35
	v_mul_f16_sdwa v35, v28, v18 dst_sel:DWORD dst_unused:UNUSED_PAD src0_sel:DWORD src1_sel:WORD_1
	v_fma_f16 v33, v31, v39, -v36
	v_fma_f16 v27, v45, v38, v40
	v_fma_f16 v31, v46, v39, v41
	v_fma_f16 v38, v28, v18, -v34
	v_fma_f16 v28, v47, v18, v35
	v_add_f16_e32 v18, v29, v32
	v_sub_f16_e32 v36, v26, v29
	v_sub_f16_e32 v37, v33, v32
	v_add_f16_e32 v39, v26, v33
	v_sub_f16_e32 v34, v23, v31
	v_sub_f16_e32 v35, v24, v30
	;; [unrolled: 1-line block ×4, first 2 shown]
	v_fma_f16 v18, v18, -0.5, v20
	v_add_f16_e32 v36, v36, v37
	v_fma_f16 v37, v39, -0.5, v20
	v_add_f16_e32 v45, v19, v44
	v_add_f16_e32 v39, v40, v41
	v_fma_f16 v40, v34, s16, v18
	v_fma_f16 v18, v34, s7, v18
	;; [unrolled: 1-line block ×4, first 2 shown]
	v_sub_f16_e32 v46, v22, v28
	v_fma_f16 v40, v35, s11, v40
	v_fma_f16 v18, v35, s6, v18
	v_fma_f16 v45, v45, -0.5, v48
	v_fma_f16 v35, v34, s11, v41
	v_fma_f16 v34, v34, s6, v37
	v_sub_f16_e32 v47, v25, v27
	v_fma_f16 v37, v46, s16, v45
	v_fma_f16 v49, v36, s10, v40
	;; [unrolled: 1-line block ×5, first 2 shown]
	v_sub_f16_e32 v34, v17, v19
	v_sub_f16_e32 v35, v38, v44
	v_fma_f16 v36, v46, s7, v45
	v_fma_f16 v37, v47, s11, v37
	v_add_f16_e32 v34, v34, v35
	v_fma_f16 v36, v47, s6, v36
	v_fma_f16 v35, v34, s10, v37
	;; [unrolled: 1-line block ×3, first 2 shown]
	v_sub_f16_e32 v36, v19, v17
	v_sub_f16_e32 v37, v44, v38
	v_add_f16_e32 v36, v36, v37
	v_add_f16_e32 v37, v17, v38
	v_fma_f16 v37, v37, -0.5, v48
	v_fma_f16 v39, v47, s7, v37
	v_fma_f16 v40, v47, s16, v37
	v_add_f16_e32 v37, v48, v17
	v_add_f16_e32 v37, v37, v19
	;; [unrolled: 1-line block ×4, first 2 shown]
	v_fma_f16 v37, v46, s11, v39
	v_fma_f16 v39, v46, s6, v40
	;; [unrolled: 1-line block ×4, first 2 shown]
	v_add_f16_e32 v39, v25, v27
	v_fma_f16 v40, v39, -0.5, v21
	v_sub_f16_e32 v17, v17, v38
	v_fma_f16 v38, v17, s7, v40
	v_sub_f16_e32 v19, v19, v44
	v_sub_f16_e32 v39, v22, v25
	;; [unrolled: 1-line block ×3, first 2 shown]
	v_fma_f16 v38, v19, s6, v38
	v_add_f16_e32 v41, v39, v41
	v_fma_f16 v39, v41, s10, v38
	v_fma_f16 v38, v17, s16, v40
	;; [unrolled: 1-line block ×4, first 2 shown]
	v_sub_f16_e32 v40, v25, v22
	v_sub_f16_e32 v41, v27, v28
	v_add_f16_e32 v41, v40, v41
	v_add_f16_e32 v40, v22, v28
	v_fma_f16 v40, v40, -0.5, v21
	v_fma_f16 v44, v19, s16, v40
	v_fma_f16 v19, v19, s7, v40
	v_add_f16_e32 v20, v20, v26
	v_fma_f16 v40, v17, s6, v44
	v_fma_f16 v17, v17, s11, v19
	v_add_f16_e32 v20, v20, v29
	v_fma_f16 v40, v41, s10, v40
	v_fma_f16 v41, v41, s10, v17
	v_mul_f16_e32 v17, 0x38b4, v39
	v_add_f16_e32 v20, v20, v32
	v_fma_f16 v17, v35, s17, v17
	v_mul_f16_e32 v19, 0x3b9c, v40
	v_add_f16_e32 v20, v20, v33
	v_add_f16_e32 v46, v49, v17
	v_sub_f16_e32 v17, v49, v17
	v_fma_f16 v19, v37, s10, v19
	v_mov_b32_e32 v49, 1
	v_add_f16_e32 v44, v20, v45
	v_sub_f16_e32 v45, v20, v45
	v_add_f16_e32 v47, v18, v19
	v_sub_f16_e32 v18, v18, v19
	v_mul_f16_e32 v19, 0x34f2, v36
	v_mul_f16_e32 v20, 0x3a79, v34
	v_lshlrev_b32_sdwa v43, v49, v43 dst_sel:DWORD dst_unused:UNUSED_PAD src0_sel:DWORD src1_sel:BYTE_0
	v_fma_f16 v19, v41, s16, -v19
	v_fma_f16 v20, v38, s11, -v20
	v_add3_u32 v42, v42, v43, v4
	v_add_f16_e32 v48, v51, v19
	v_sub_f16_e32 v19, v51, v19
	v_add_f16_e32 v51, v50, v20
	v_sub_f16_e32 v20, v50, v20
	ds_read_u16 v49, v11
	s_waitcnt lgkmcnt(0)
	s_barrier
	ds_write_b16 v42, v44
	ds_write_b16 v42, v46 offset:6
	ds_write_b16 v42, v47 offset:12
	;; [unrolled: 1-line block ×9, first 2 shown]
	s_waitcnt lgkmcnt(0)
	s_barrier
	ds_read_u16 v43, v11
	ds_read_u16 v46, v9 offset:180
	ds_read_u16 v45, v9 offset:360
	;; [unrolled: 1-line block ×5, first 2 shown]
	s_and_saveexec_b64 s[4:5], s[2:3]
	s_cbranch_execz .LBB0_21
; %bb.20:
	ds_read_u16 v17, v12
	ds_read_u16 v18, v9 offset:288
	ds_read_u16 v19, v9 offset:468
	;; [unrolled: 1-line block ×5, first 2 shown]
.LBB0_21:
	s_or_b64 exec, exec, s[4:5]
	v_add_f16_e32 v51, v24, v30
	v_fma_f16 v51, v51, -0.5, v49
	v_sub_f16_e32 v26, v26, v33
	v_fma_f16 v33, v26, s7, v51
	v_sub_f16_e32 v29, v29, v32
	v_fma_f16 v32, v29, s6, v33
	v_sub_f16_e32 v33, v23, v24
	v_sub_f16_e32 v52, v31, v30
	v_fma_f16 v51, v26, s16, v51
	v_add_f16_e32 v33, v33, v52
	v_fma_f16 v51, v29, s11, v51
	v_fma_f16 v32, v33, s10, v32
	;; [unrolled: 1-line block ×3, first 2 shown]
	v_add_f16_e32 v51, v23, v31
	v_add_f16_e32 v50, v49, v23
	v_fma_f16 v49, v51, -0.5, v49
	v_add_f16_e32 v50, v50, v24
	v_fma_f16 v51, v29, s16, v49
	v_sub_f16_e32 v23, v24, v23
	v_sub_f16_e32 v24, v30, v31
	v_fma_f16 v29, v29, s7, v49
	v_add_f16_e32 v21, v21, v22
	v_fma_f16 v51, v26, s6, v51
	v_add_f16_e32 v23, v23, v24
	;; [unrolled: 2-line block ×3, first 2 shown]
	v_add_f16_e32 v50, v50, v30
	v_fma_f16 v24, v23, s10, v51
	v_fma_f16 v23, v23, s10, v26
	v_add_f16_e32 v21, v21, v27
	v_mul_f16_e32 v25, 0xb8b4, v35
	v_mul_f16_e32 v26, 0xbb9c, v37
	;; [unrolled: 1-line block ×3, first 2 shown]
	v_add_f16_e32 v50, v50, v31
	v_add_f16_e32 v21, v21, v28
	v_fma_f16 v25, v39, s17, v25
	v_fma_f16 v26, v40, s10, v26
	v_fma_f16 v30, v36, s7, -v27
	v_mul_f16_e32 v27, 0x3a79, v38
	v_add_f16_e32 v22, v50, v21
	v_add_f16_e32 v28, v32, v25
	;; [unrolled: 1-line block ×4, first 2 shown]
	v_fma_f16 v34, v34, s6, -v27
	v_add_f16_e32 v35, v33, v34
	v_sub_f16_e32 v36, v50, v21
	v_sub_f16_e32 v21, v32, v25
	;; [unrolled: 1-line block ×5, first 2 shown]
	s_waitcnt lgkmcnt(0)
	s_barrier
	ds_write_b16 v42, v22
	ds_write_b16 v42, v28 offset:6
	ds_write_b16 v42, v29 offset:12
	;; [unrolled: 1-line block ×9, first 2 shown]
	s_waitcnt lgkmcnt(0)
	s_barrier
	ds_read_u16 v22, v11
	ds_read_u16 v32, v9 offset:180
	ds_read_u16 v31, v9 offset:360
	;; [unrolled: 1-line block ×5, first 2 shown]
	s_and_saveexec_b64 s[4:5], s[2:3]
	s_cbranch_execz .LBB0_23
; %bb.22:
	ds_read_u16 v21, v12
	ds_read_u16 v27, v9 offset:288
	ds_read_u16 v26, v9 offset:468
	;; [unrolled: 1-line block ×5, first 2 shown]
.LBB0_23:
	s_or_b64 exec, exec, s[4:5]
	v_subrev_u32_e32 v23, 30, v5
	v_cmp_gt_u32_e64 s[4:5], 30, v5
	v_cndmask_b32_e64 v53, v23, v5, s[4:5]
	v_mul_i32_i24_e32 v23, 5, v53
	v_mov_b32_e32 v24, 0
	v_lshlrev_b64 v[23:24], 2, v[23:24]
	v_mov_b32_e32 v33, s9
	v_add_co_u32_e64 v23, s[4:5], s8, v23
	v_addc_co_u32_e64 v24, s[4:5], v33, v24, s[4:5]
	s_movk_i32 s4, 0x89
	global_load_dwordx4 v[39:42], v[23:24], off offset:108
	global_load_dword v34, v[23:24], off offset:124
	v_mul_lo_u16_sdwa v23, v8, s4 dst_sel:DWORD dst_unused:UNUSED_PAD src0_sel:BYTE_0 src1_sel:DWORD
	v_lshrrev_b16_e32 v23, 12, v23
	v_mul_lo_u16_e32 v24, 30, v23
	v_mov_b32_e32 v33, 5
	v_sub_u16_e32 v24, v8, v24
	v_mul_u32_u24_sdwa v33, v24, v33 dst_sel:DWORD dst_unused:UNUSED_PAD src0_sel:BYTE_0 src1_sel:DWORD
	v_lshlrev_b32_e32 v33, 2, v33
	global_load_dwordx4 v[49:52], v33, s[8:9] offset:108
	global_load_dword v54, v33, s[8:9] offset:124
	s_mov_b32 s5, 0xbaee
	s_movk_i32 s4, 0x3aee
	v_lshlrev_b32_e32 v53, 1, v53
	s_movk_i32 s6, 0x168
	s_waitcnt vmcnt(0) lgkmcnt(0)
	s_barrier
	v_mul_f16_sdwa v33, v32, v39 dst_sel:DWORD dst_unused:UNUSED_PAD src0_sel:DWORD src1_sel:WORD_1
	v_mul_f16_sdwa v35, v46, v39 dst_sel:DWORD dst_unused:UNUSED_PAD src0_sel:DWORD src1_sel:WORD_1
	;; [unrolled: 1-line block ×10, first 2 shown]
	v_fma_f16 v46, v46, v39, -v33
	v_fma_f16 v32, v32, v39, v35
	v_fma_f16 v36, v45, v40, -v36
	v_fma_f16 v39, v31, v40, v37
	;; [unrolled: 2-line block ×3, first 2 shown]
	v_fma_f16 v37, v28, v34, v59
	v_mul_f16_sdwa v28, v27, v49 dst_sel:DWORD dst_unused:UNUSED_PAD src0_sel:DWORD src1_sel:WORD_1
	v_mul_f16_sdwa v30, v18, v49 dst_sel:DWORD dst_unused:UNUSED_PAD src0_sel:DWORD src1_sel:WORD_1
	;; [unrolled: 1-line block ×3, first 2 shown]
	v_fma_f16 v41, v48, v42, -v56
	v_fma_f16 v44, v29, v42, v57
	v_fma_f16 v29, v47, v34, -v58
	v_mul_f16_sdwa v35, v19, v50 dst_sel:DWORD dst_unused:UNUSED_PAD src0_sel:DWORD src1_sel:WORD_1
	v_mul_f16_sdwa v42, v20, v51 dst_sel:DWORD dst_unused:UNUSED_PAD src0_sel:DWORD src1_sel:WORD_1
	;; [unrolled: 1-line block ×3, first 2 shown]
	v_fma_f16 v28, v18, v49, -v28
	v_fma_f16 v18, v27, v49, v30
	v_fma_f16 v27, v20, v51, -v40
	v_add_f16_e32 v20, v46, v31
	v_add_f16_e32 v30, v33, v37
	v_mul_f16_sdwa v47, v14, v52 dst_sel:DWORD dst_unused:UNUSED_PAD src0_sel:DWORD src1_sel:WORD_1
	v_mul_f16_sdwa v55, v13, v54 dst_sel:DWORD dst_unused:UNUSED_PAD src0_sel:DWORD src1_sel:WORD_1
	v_fma_f16 v38, v26, v50, v35
	v_fma_f16 v35, v25, v51, v42
	v_fma_f16 v40, v14, v52, -v45
	v_add_f16_e32 v14, v43, v36
	v_add_f16_e32 v25, v31, v29
	v_sub_f16_e32 v31, v31, v29
	v_add_f16_e32 v20, v20, v29
	v_fma_f16 v29, v30, -0.5, v32
	v_mul_f16_sdwa v34, v26, v50 dst_sel:DWORD dst_unused:UNUSED_PAD src0_sel:DWORD src1_sel:WORD_1
	v_mul_f16_sdwa v48, v15, v54 dst_sel:DWORD dst_unused:UNUSED_PAD src0_sel:DWORD src1_sel:WORD_1
	v_fma_f16 v42, v16, v52, v47
	v_fma_f16 v16, v15, v54, v55
	v_add_f16_e32 v15, v36, v41
	v_sub_f16_e32 v26, v33, v37
	v_add_f16_e32 v14, v14, v41
	v_fma_f16 v25, v25, -0.5, v46
	v_fma_f16 v47, v31, s5, v29
	v_fma_f16 v34, v19, v50, -v34
	v_sub_f16_e32 v19, v39, v44
	v_fma_f16 v15, v15, -0.5, v43
	v_fma_f16 v45, v26, s4, v25
	v_fma_f16 v43, v26, s5, v25
	;; [unrolled: 1-line block ×3, first 2 shown]
	v_add_f16_e32 v29, v14, v20
	v_sub_f16_e32 v31, v14, v20
	v_mul_f16_e32 v14, 0x3aee, v47
	v_fma_f16 v30, v19, s4, v15
	v_fma_f16 v15, v19, s5, v15
	v_mul_f16_e32 v19, -0.5, v43
	v_fma_f16 v14, v45, 0.5, v14
	v_fma_f16 v19, v46, s4, v19
	v_add_f16_e32 v52, v30, v14
	v_sub_f16_e32 v30, v30, v14
	v_add_f16_e32 v14, v17, v34
	v_fma_f16 v13, v13, v54, -v48
	v_add_f16_e32 v54, v15, v19
	v_sub_f16_e32 v55, v15, v19
	v_add_f16_e32 v19, v14, v40
	v_add_f16_e32 v14, v34, v40
	v_fma_f16 v14, v14, -0.5, v17
	v_sub_f16_e32 v15, v38, v42
	v_fma_f16 v20, v15, s4, v14
	v_fma_f16 v25, v15, s5, v14
	v_add_f16_e32 v14, v28, v27
	v_add_f16_e32 v26, v14, v13
	v_add_f16_e32 v14, v27, v13
	v_fma_f16 v14, v14, -0.5, v28
	v_sub_f16_e32 v15, v35, v16
	v_fma_f16 v48, v15, s4, v14
	v_fma_f16 v17, v15, s5, v14
	v_add_f16_e32 v14, v35, v16
	v_fma_f16 v14, v14, -0.5, v18
	v_sub_f16_e32 v13, v27, v13
	v_fma_f16 v49, v13, s5, v14
	v_fma_f16 v50, v13, s4, v14
	v_mul_f16_e32 v13, 0x3aee, v49
	v_fma_f16 v27, v48, 0.5, v13
	v_mul_f16_e32 v13, -0.5, v17
	v_fma_f16 v28, v50, s4, v13
	v_mov_b32_e32 v51, 0x168
	v_cmp_lt_u32_e64 s[4:5], 29, v5
	v_cndmask_b32_e64 v51, 0, v51, s[4:5]
	v_add_u32_e32 v51, 0, v51
	v_sub_f16_e32 v13, v19, v26
	v_sub_f16_e32 v15, v20, v27
	;; [unrolled: 1-line block ×3, first 2 shown]
	v_add3_u32 v51, v51, v53, v4
	ds_write_b16 v51, v29
	ds_write_b16 v51, v52 offset:60
	ds_write_b16 v51, v54 offset:120
	;; [unrolled: 1-line block ×5, first 2 shown]
	s_and_saveexec_b64 s[4:5], s[2:3]
	s_cbranch_execz .LBB0_25
; %bb.24:
	v_add_f16_e32 v20, v20, v27
	v_mov_b32_e32 v27, 1
	v_add_f16_e32 v19, v19, v26
	v_mad_u32_u24 v26, v23, s6, 0
	v_lshlrev_b32_sdwa v27, v27, v24 dst_sel:DWORD dst_unused:UNUSED_PAD src0_sel:DWORD src1_sel:BYTE_0
	v_add3_u32 v26, v26, v27, v4
	v_add_f16_e32 v25, v25, v28
	ds_write_b16 v26, v19
	ds_write_b16 v26, v20 offset:60
	ds_write_b16 v26, v25 offset:120
	;; [unrolled: 1-line block ×5, first 2 shown]
.LBB0_25:
	s_or_b64 exec, exec, s[4:5]
	s_waitcnt lgkmcnt(0)
	s_barrier
	ds_read_u16 v19, v11
	ds_read_u16 v20, v12
	ds_read_u16 v27, v9 offset:468
	ds_read_u16 v28, v9 offset:828
	;; [unrolled: 1-line block ×5, first 2 shown]
	ds_read_u16 v25, v10
	ds_read_u16 v31, v9 offset:936
	s_and_saveexec_b64 s[4:5], s[0:1]
	s_cbranch_execz .LBB0_27
; %bb.26:
	ds_read_u16 v13, v9 offset:324
	ds_read_u16 v15, v9 offset:684
	;; [unrolled: 1-line block ×3, first 2 shown]
.LBB0_27:
	s_or_b64 exec, exec, s[4:5]
	v_add_f16_e32 v52, v22, v39
	v_add_f16_e32 v39, v39, v44
	;; [unrolled: 1-line block ×4, first 2 shown]
	v_fma_f16 v22, v39, -0.5, v22
	v_sub_f16_e32 v36, v36, v41
	s_mov_b32 s4, 0xbaee
	s_movk_i32 s5, 0x3aee
	v_add_f16_e32 v32, v32, v37
	v_mul_f16_e32 v33, 0xbaee, v45
	v_fma_f16 v39, v36, s4, v22
	v_fma_f16 v22, v36, s5, v22
	v_add_f16_e32 v36, v52, v32
	v_fma_f16 v33, v47, 0.5, v33
	v_mul_f16_e32 v41, -0.5, v46
	v_sub_f16_e32 v44, v52, v32
	v_add_f16_e32 v32, v38, v42
	v_add_f16_e32 v37, v39, v33
	v_fma_f16 v41, v43, s4, v41
	v_sub_f16_e32 v39, v39, v33
	v_fma_f16 v32, v32, -0.5, v21
	v_sub_f16_e32 v33, v34, v40
	v_add_f16_e32 v18, v18, v35
	v_add_f16_e32 v43, v22, v41
	v_sub_f16_e32 v41, v22, v41
	v_add_f16_e32 v22, v21, v38
	v_fma_f16 v21, v33, s4, v32
	v_fma_f16 v32, v33, s5, v32
	v_add_f16_e32 v33, v18, v16
	v_mul_f16_e32 v16, 0xbaee, v48
	v_fma_f16 v34, v49, 0.5, v16
	v_mul_f16_e32 v16, -0.5, v50
	v_add_f16_e32 v22, v22, v42
	v_fma_f16 v35, v17, s4, v16
	v_sub_f16_e32 v16, v22, v33
	v_sub_f16_e32 v18, v21, v34
	v_sub_f16_e32 v17, v32, v35
	s_waitcnt lgkmcnt(0)
	s_barrier
	ds_write_b16 v51, v36
	ds_write_b16 v51, v37 offset:60
	ds_write_b16 v51, v43 offset:120
	;; [unrolled: 1-line block ×5, first 2 shown]
	s_and_saveexec_b64 s[4:5], s[2:3]
	s_cbranch_execz .LBB0_29
; %bb.28:
	v_add_f16_e32 v22, v22, v33
	s_movk_i32 s2, 0x168
	v_mov_b32_e32 v33, 1
	v_mad_u32_u24 v23, v23, s2, 0
	v_lshlrev_b32_sdwa v24, v33, v24 dst_sel:DWORD dst_unused:UNUSED_PAD src0_sel:DWORD src1_sel:BYTE_0
	v_add3_u32 v4, v23, v24, v4
	v_add_f16_e32 v21, v21, v34
	v_add_f16_e32 v32, v32, v35
	ds_write_b16 v4, v22
	ds_write_b16 v4, v21 offset:60
	ds_write_b16 v4, v32 offset:120
	;; [unrolled: 1-line block ×5, first 2 shown]
.LBB0_29:
	s_or_b64 exec, exec, s[4:5]
	s_waitcnt lgkmcnt(0)
	s_barrier
	ds_read_u16 v11, v11
	ds_read_u16 v12, v12
	ds_read_u16 v22, v9 offset:468
	ds_read_u16 v23, v9 offset:828
	;; [unrolled: 1-line block ×5, first 2 shown]
	ds_read_u16 v10, v10
	ds_read_u16 v33, v9 offset:936
	s_and_saveexec_b64 s[2:3], s[0:1]
	s_cbranch_execz .LBB0_31
; %bb.30:
	ds_read_u16 v16, v9 offset:324
	ds_read_u16 v18, v9 offset:684
	;; [unrolled: 1-line block ×3, first 2 shown]
.LBB0_31:
	s_or_b64 exec, exec, s[2:3]
	s_and_saveexec_b64 s[2:3], vcc
	s_cbranch_execz .LBB0_34
; %bb.32:
	v_lshlrev_b32_e32 v3, 1, v3
	v_mov_b32_e32 v4, 0
	v_lshlrev_b64 v[34:35], 2, v[3:4]
	v_lshlrev_b32_e32 v3, 1, v8
	v_mov_b32_e32 v36, s9
	v_add_co_u32_e32 v34, vcc, s8, v34
	v_lshlrev_b64 v[8:9], 2, v[3:4]
	v_addc_co_u32_e32 v35, vcc, v36, v35, vcc
	v_mov_b32_e32 v3, v4
	v_add_co_u32_e32 v8, vcc, s8, v8
	v_lshlrev_b64 v[2:3], 2, v[2:3]
	v_addc_co_u32_e32 v9, vcc, v36, v9, vcc
	global_load_dwordx2 v[34:35], v[34:35], off offset:708
	v_add_co_u32_e32 v2, vcc, s8, v2
	global_load_dwordx2 v[8:9], v[8:9], off offset:708
	v_addc_co_u32_e32 v3, vcc, v36, v3, vcc
	global_load_dwordx2 v[2:3], v[2:3], off offset:708
	v_mad_u64_u32 v[36:37], s[4:5], s12, v5, 0
	s_movk_i32 s2, 0x3aee
	s_mov_b32 s3, 0xbaee
	v_add_co_u32_e32 v0, vcc, s14, v0
	s_waitcnt vmcnt(2) lgkmcnt(3)
	v_mul_f16_sdwa v38, v32, v34 dst_sel:DWORD dst_unused:UNUSED_PAD src0_sel:DWORD src1_sel:WORD_1
	s_waitcnt lgkmcnt(0)
	v_mul_f16_sdwa v39, v33, v35 dst_sel:DWORD dst_unused:UNUSED_PAD src0_sel:DWORD src1_sel:WORD_1
	v_mul_f16_sdwa v40, v30, v34 dst_sel:DWORD dst_unused:UNUSED_PAD src0_sel:DWORD src1_sel:WORD_1
	;; [unrolled: 1-line block ×3, first 2 shown]
	v_fma_f16 v30, v30, v34, -v38
	v_fma_f16 v31, v31, v35, -v39
	v_fma_f16 v32, v32, v34, v40
	v_fma_f16 v33, v33, v35, v41
	s_waitcnt vmcnt(1)
	v_mul_f16_sdwa v34, v22, v8 dst_sel:DWORD dst_unused:UNUSED_PAD src0_sel:DWORD src1_sel:WORD_1
	v_mul_f16_sdwa v35, v23, v9 dst_sel:DWORD dst_unused:UNUSED_PAD src0_sel:DWORD src1_sel:WORD_1
	v_mul_f16_sdwa v38, v27, v8 dst_sel:DWORD dst_unused:UNUSED_PAD src0_sel:DWORD src1_sel:WORD_1
	v_mul_f16_sdwa v39, v28, v9 dst_sel:DWORD dst_unused:UNUSED_PAD src0_sel:DWORD src1_sel:WORD_1
	s_waitcnt vmcnt(0)
	v_mul_f16_sdwa v40, v24, v2 dst_sel:DWORD dst_unused:UNUSED_PAD src0_sel:DWORD src1_sel:WORD_1
	v_mul_f16_sdwa v41, v21, v3 dst_sel:DWORD dst_unused:UNUSED_PAD src0_sel:DWORD src1_sel:WORD_1
	v_mul_f16_sdwa v42, v29, v2 dst_sel:DWORD dst_unused:UNUSED_PAD src0_sel:DWORD src1_sel:WORD_1
	v_mul_f16_sdwa v43, v26, v3 dst_sel:DWORD dst_unused:UNUSED_PAD src0_sel:DWORD src1_sel:WORD_1
	v_fma_f16 v27, v27, v8, -v34
	v_fma_f16 v28, v28, v9, -v35
	v_fma_f16 v8, v22, v8, v38
	v_fma_f16 v9, v23, v9, v39
	v_sub_f16_e32 v44, v30, v31
	v_add_f16_e32 v47, v30, v31
	v_add_f16_e32 v30, v25, v30
	v_fma_f16 v22, v29, v2, -v40
	v_fma_f16 v23, v26, v3, -v41
	v_fma_f16 v2, v24, v2, v42
	v_fma_f16 v3, v21, v3, v43
	v_add_f16_e32 v29, v8, v9
	v_fma_f16 v24, v47, -0.5, v25
	v_add_f16_e32 v25, v30, v31
	v_sub_f16_e32 v26, v27, v28
	v_add_f16_e32 v30, v12, v8
	v_add_f16_e32 v31, v27, v28
	;; [unrolled: 1-line block ×5, first 2 shown]
	v_sub_f16_e32 v39, v2, v3
	v_fma_f16 v2, v29, -0.5, v12
	v_sub_f16_e32 v8, v8, v9
	v_add_f16_e32 v12, v30, v9
	v_fma_f16 v9, v31, -0.5, v20
	v_add_f16_e32 v20, v27, v28
	v_fma_f16 v28, v26, s2, v2
	v_fma_f16 v26, v26, s3, v2
	v_mov_b32_e32 v2, v37
	v_add_f16_e32 v45, v32, v33
	v_add_f16_e32 v27, v35, v3
	v_mad_u64_u32 v[2:3], s[4:5], s13, v5, v[2:3]
	v_add_f16_e32 v46, v10, v32
	v_fma_f16 v10, v45, -0.5, v10
	v_sub_f16_e32 v32, v32, v33
	v_add_f16_e32 v21, v46, v33
	v_sub_f16_e32 v33, v22, v23
	v_fma_f16 v40, v44, s2, v10
	v_fma_f16 v41, v44, s3, v10
	v_fma_f16 v10, v34, -0.5, v11
	v_add_f16_e32 v38, v22, v23
	v_fma_f16 v42, v32, s3, v24
	v_fma_f16 v24, v32, s2, v24
	;; [unrolled: 1-line block ×4, first 2 shown]
	v_add_f16_e32 v3, v19, v22
	v_add_u32_e32 v10, 0xb4, v5
	v_fma_f16 v11, v38, -0.5, v19
	v_add_f16_e32 v19, v3, v23
	v_mov_b32_e32 v37, v2
	v_mad_u64_u32 v[2:3], s[4:5], s12, v10, 0
	v_fma_f16 v29, v8, s3, v9
	v_fma_f16 v30, v8, s2, v9
	v_mov_b32_e32 v8, s15
	v_fma_f16 v33, v39, s3, v11
	v_fma_f16 v34, v39, s2, v11
	v_addc_co_u32_e32 v1, vcc, v8, v1, vcc
	v_lshlrev_b64 v[8:9], 2, v[36:37]
	v_mad_u64_u32 v[10:11], s[4:5], s13, v10, v[3:4]
	v_add_co_u32_e32 v8, vcc, v0, v8
	v_addc_co_u32_e32 v9, vcc, v1, v9, vcc
	v_pack_b32_f16 v3, v19, v27
	global_store_dword v[8:9], v3, off
	v_mov_b32_e32 v3, v10
	v_add_u32_e32 v10, 0x168, v5
	v_mad_u64_u32 v[8:9], s[4:5], s12, v10, 0
	v_lshlrev_b64 v[2:3], 2, v[2:3]
	v_add_u32_e32 v22, 0xea, v5
	v_mad_u64_u32 v[9:10], s[4:5], s13, v10, v[9:10]
	v_add_co_u32_e32 v2, vcc, v0, v2
	v_addc_co_u32_e32 v3, vcc, v1, v3, vcc
	v_pack_b32_f16 v10, v34, v32
	global_store_dword v[2:3], v10, off
	v_lshlrev_b64 v[2:3], 2, v[8:9]
	v_mad_u64_u32 v[8:9], s[4:5], s12, v6, 0
	v_add_co_u32_e32 v2, vcc, v0, v2
	v_mad_u64_u32 v[9:10], s[4:5], s13, v6, v[9:10]
	v_mad_u64_u32 v[10:11], s[4:5], s12, v22, 0
	v_addc_co_u32_e32 v3, vcc, v1, v3, vcc
	v_pack_b32_f16 v19, v33, v31
	v_mov_b32_e32 v6, v11
	global_store_dword v[2:3], v19, off
	v_lshlrev_b64 v[2:3], 2, v[8:9]
	v_mad_u64_u32 v[8:9], s[4:5], s13, v22, v[6:7]
	v_add_co_u32_e32 v2, vcc, v0, v2
	v_addc_co_u32_e32 v3, vcc, v1, v3, vcc
	v_pack_b32_f16 v6, v20, v12
	v_mov_b32_e32 v11, v8
	global_store_dword v[2:3], v6, off
	v_lshlrev_b64 v[2:3], 2, v[10:11]
	v_add_u32_e32 v10, 0x19e, v5
	v_mad_u64_u32 v[8:9], s[4:5], s12, v10, 0
	v_add_u32_e32 v11, 0x6c, v5
	v_lshrrev_b32_e32 v6, 2, v11
	s_mov_b32 s4, 0x16c16c17
	v_mul_hi_u32 v19, v6, s4
	v_mov_b32_e32 v6, v9
	v_mad_u64_u32 v[9:10], s[4:5], s13, v10, v[6:7]
	v_lshrrev_b32_e32 v6, 2, v19
	v_mad_u32_u24 v19, v6, s6, v11
	v_mad_u64_u32 v[10:11], s[4:5], s12, v19, 0
	v_add_co_u32_e32 v2, vcc, v0, v2
	v_addc_co_u32_e32 v3, vcc, v1, v3, vcc
	v_pack_b32_f16 v12, v30, v26
	v_mov_b32_e32 v6, v11
	global_store_dword v[2:3], v12, off
	v_lshlrev_b64 v[2:3], 2, v[8:9]
	v_mad_u64_u32 v[8:9], s[4:5], s13, v19, v[6:7]
	v_add_co_u32_e32 v2, vcc, v0, v2
	v_addc_co_u32_e32 v3, vcc, v1, v3, vcc
	v_pack_b32_f16 v6, v29, v28
	v_mov_b32_e32 v11, v8
	global_store_dword v[2:3], v6, off
	v_lshlrev_b64 v[2:3], 2, v[10:11]
	v_add_u32_e32 v10, 0xb4, v19
	v_mad_u64_u32 v[8:9], s[4:5], s12, v10, 0
	v_add_u32_e32 v19, 0x168, v19
	v_add_co_u32_e32 v2, vcc, v0, v2
	v_mov_b32_e32 v6, v9
	v_mad_u64_u32 v[9:10], s[4:5], s13, v10, v[6:7]
	v_mad_u64_u32 v[10:11], s[4:5], s12, v19, 0
	v_addc_co_u32_e32 v3, vcc, v1, v3, vcc
	v_pack_b32_f16 v12, v25, v21
	v_mov_b32_e32 v6, v11
	global_store_dword v[2:3], v12, off
	v_lshlrev_b64 v[2:3], 2, v[8:9]
	v_mad_u64_u32 v[8:9], s[4:5], s13, v19, v[6:7]
	v_add_co_u32_e32 v2, vcc, v0, v2
	v_addc_co_u32_e32 v3, vcc, v1, v3, vcc
	v_pack_b32_f16 v6, v24, v41
	v_mov_b32_e32 v11, v8
	global_store_dword v[2:3], v6, off
	v_lshlrev_b64 v[2:3], 2, v[10:11]
	v_pack_b32_f16 v6, v42, v40
	v_add_co_u32_e32 v2, vcc, v0, v2
	v_addc_co_u32_e32 v3, vcc, v1, v3, vcc
	global_store_dword v[2:3], v6, off
	s_and_b64 exec, exec, s[0:1]
	s_cbranch_execz .LBB0_34
; %bb.33:
	v_subrev_u32_e32 v2, 18, v5
	v_cndmask_b32_e64 v2, v2, v7, s[0:1]
	v_lshlrev_b32_e32 v3, 1, v2
	v_lshlrev_b64 v[2:3], 2, v[3:4]
	v_mov_b32_e32 v4, s9
	v_add_co_u32_e32 v2, vcc, s8, v2
	v_addc_co_u32_e32 v3, vcc, v4, v3, vcc
	global_load_dwordx2 v[2:3], v[2:3], off offset:708
	v_mad_u64_u32 v[8:9], s[0:1], s12, v7, 0
	v_add_u32_e32 v12, 0x156, v5
	v_add_u32_e32 v19, 0x20a, v5
	v_mov_b32_e32 v6, v9
	v_mad_u64_u32 v[4:5], s[0:1], s12, v12, 0
	v_mad_u64_u32 v[10:11], s[0:1], s12, v19, 0
	;; [unrolled: 1-line block ×3, first 2 shown]
	v_mov_b32_e32 v7, v11
	v_mad_u64_u32 v[19:20], s[0:1], s13, v19, v[7:8]
	v_mad_u64_u32 v[11:12], s[0:1], s13, v12, v[5:6]
	v_mov_b32_e32 v9, v6
	v_lshlrev_b64 v[6:7], 2, v[8:9]
	v_mov_b32_e32 v5, v11
	v_lshlrev_b64 v[4:5], 2, v[4:5]
	v_add_co_u32_e32 v6, vcc, v0, v6
	v_mov_b32_e32 v11, v19
	v_addc_co_u32_e32 v7, vcc, v1, v7, vcc
	v_lshlrev_b64 v[8:9], 2, v[10:11]
	v_add_co_u32_e32 v4, vcc, v0, v4
	v_addc_co_u32_e32 v5, vcc, v1, v5, vcc
	v_add_co_u32_e32 v0, vcc, v0, v8
	v_addc_co_u32_e32 v1, vcc, v1, v9, vcc
	s_waitcnt vmcnt(0)
	v_mul_f16_sdwa v8, v18, v2 dst_sel:DWORD dst_unused:UNUSED_PAD src0_sel:DWORD src1_sel:WORD_1
	v_mul_f16_sdwa v9, v15, v2 dst_sel:DWORD dst_unused:UNUSED_PAD src0_sel:DWORD src1_sel:WORD_1
	;; [unrolled: 1-line block ×4, first 2 shown]
	v_fma_f16 v8, v15, v2, -v8
	v_fma_f16 v2, v18, v2, v9
	v_fma_f16 v9, v14, v3, -v10
	v_fma_f16 v3, v17, v3, v11
	v_add_f16_e32 v10, v13, v8
	v_add_f16_e32 v11, v8, v9
	v_sub_f16_e32 v12, v2, v3
	v_add_f16_e32 v14, v16, v2
	v_add_f16_e32 v2, v2, v3
	v_sub_f16_e32 v8, v8, v9
	v_add_f16_e32 v9, v10, v9
	v_fma_f16 v10, v11, -0.5, v13
	v_add_f16_e32 v3, v14, v3
	v_fma_f16 v2, v2, -0.5, v16
	v_fma_f16 v11, v12, s2, v10
	v_fma_f16 v10, v12, s3, v10
	;; [unrolled: 1-line block ×3, first 2 shown]
	v_pack_b32_f16 v3, v9, v3
	v_fma_f16 v2, v8, s2, v2
	global_store_dword v[6:7], v3, off
	v_pack_b32_f16 v3, v11, v12
	v_pack_b32_f16 v2, v10, v2
	global_store_dword v[4:5], v3, off
	global_store_dword v[0:1], v2, off
.LBB0_34:
	s_endpgm
	.section	.rodata,"a",@progbits
	.p2align	6, 0x0
	.amdhsa_kernel fft_rtc_fwd_len540_factors_3_10_6_3_wgs_216_tpt_54_halfLds_half_ip_CI_sbrr_dirReg
		.amdhsa_group_segment_fixed_size 0
		.amdhsa_private_segment_fixed_size 0
		.amdhsa_kernarg_size 88
		.amdhsa_user_sgpr_count 6
		.amdhsa_user_sgpr_private_segment_buffer 1
		.amdhsa_user_sgpr_dispatch_ptr 0
		.amdhsa_user_sgpr_queue_ptr 0
		.amdhsa_user_sgpr_kernarg_segment_ptr 1
		.amdhsa_user_sgpr_dispatch_id 0
		.amdhsa_user_sgpr_flat_scratch_init 0
		.amdhsa_user_sgpr_private_segment_size 0
		.amdhsa_uses_dynamic_stack 0
		.amdhsa_system_sgpr_private_segment_wavefront_offset 0
		.amdhsa_system_sgpr_workgroup_id_x 1
		.amdhsa_system_sgpr_workgroup_id_y 0
		.amdhsa_system_sgpr_workgroup_id_z 0
		.amdhsa_system_sgpr_workgroup_info 0
		.amdhsa_system_vgpr_workitem_id 0
		.amdhsa_next_free_vgpr 60
		.amdhsa_next_free_sgpr 24
		.amdhsa_reserve_vcc 1
		.amdhsa_reserve_flat_scratch 0
		.amdhsa_float_round_mode_32 0
		.amdhsa_float_round_mode_16_64 0
		.amdhsa_float_denorm_mode_32 3
		.amdhsa_float_denorm_mode_16_64 3
		.amdhsa_dx10_clamp 1
		.amdhsa_ieee_mode 1
		.amdhsa_fp16_overflow 0
		.amdhsa_exception_fp_ieee_invalid_op 0
		.amdhsa_exception_fp_denorm_src 0
		.amdhsa_exception_fp_ieee_div_zero 0
		.amdhsa_exception_fp_ieee_overflow 0
		.amdhsa_exception_fp_ieee_underflow 0
		.amdhsa_exception_fp_ieee_inexact 0
		.amdhsa_exception_int_div_zero 0
	.end_amdhsa_kernel
	.text
.Lfunc_end0:
	.size	fft_rtc_fwd_len540_factors_3_10_6_3_wgs_216_tpt_54_halfLds_half_ip_CI_sbrr_dirReg, .Lfunc_end0-fft_rtc_fwd_len540_factors_3_10_6_3_wgs_216_tpt_54_halfLds_half_ip_CI_sbrr_dirReg
                                        ; -- End function
	.section	.AMDGPU.csdata,"",@progbits
; Kernel info:
; codeLenInByte = 7740
; NumSgprs: 28
; NumVgprs: 60
; ScratchSize: 0
; MemoryBound: 0
; FloatMode: 240
; IeeeMode: 1
; LDSByteSize: 0 bytes/workgroup (compile time only)
; SGPRBlocks: 3
; VGPRBlocks: 14
; NumSGPRsForWavesPerEU: 28
; NumVGPRsForWavesPerEU: 60
; Occupancy: 4
; WaveLimiterHint : 1
; COMPUTE_PGM_RSRC2:SCRATCH_EN: 0
; COMPUTE_PGM_RSRC2:USER_SGPR: 6
; COMPUTE_PGM_RSRC2:TRAP_HANDLER: 0
; COMPUTE_PGM_RSRC2:TGID_X_EN: 1
; COMPUTE_PGM_RSRC2:TGID_Y_EN: 0
; COMPUTE_PGM_RSRC2:TGID_Z_EN: 0
; COMPUTE_PGM_RSRC2:TIDIG_COMP_CNT: 0
	.type	__hip_cuid_29ad48577c29fdb3,@object ; @__hip_cuid_29ad48577c29fdb3
	.section	.bss,"aw",@nobits
	.globl	__hip_cuid_29ad48577c29fdb3
__hip_cuid_29ad48577c29fdb3:
	.byte	0                               ; 0x0
	.size	__hip_cuid_29ad48577c29fdb3, 1

	.ident	"AMD clang version 19.0.0git (https://github.com/RadeonOpenCompute/llvm-project roc-6.4.0 25133 c7fe45cf4b819c5991fe208aaa96edf142730f1d)"
	.section	".note.GNU-stack","",@progbits
	.addrsig
	.addrsig_sym __hip_cuid_29ad48577c29fdb3
	.amdgpu_metadata
---
amdhsa.kernels:
  - .args:
      - .actual_access:  read_only
        .address_space:  global
        .offset:         0
        .size:           8
        .value_kind:     global_buffer
      - .offset:         8
        .size:           8
        .value_kind:     by_value
      - .actual_access:  read_only
        .address_space:  global
        .offset:         16
        .size:           8
        .value_kind:     global_buffer
      - .actual_access:  read_only
        .address_space:  global
        .offset:         24
        .size:           8
        .value_kind:     global_buffer
      - .offset:         32
        .size:           8
        .value_kind:     by_value
      - .actual_access:  read_only
        .address_space:  global
        .offset:         40
        .size:           8
        .value_kind:     global_buffer
      - .actual_access:  read_only
        .address_space:  global
        .offset:         48
        .size:           8
        .value_kind:     global_buffer
      - .offset:         56
        .size:           4
        .value_kind:     by_value
      - .actual_access:  read_only
        .address_space:  global
        .offset:         64
        .size:           8
        .value_kind:     global_buffer
      - .actual_access:  read_only
        .address_space:  global
        .offset:         72
        .size:           8
        .value_kind:     global_buffer
      - .address_space:  global
        .offset:         80
        .size:           8
        .value_kind:     global_buffer
    .group_segment_fixed_size: 0
    .kernarg_segment_align: 8
    .kernarg_segment_size: 88
    .language:       OpenCL C
    .language_version:
      - 2
      - 0
    .max_flat_workgroup_size: 216
    .name:           fft_rtc_fwd_len540_factors_3_10_6_3_wgs_216_tpt_54_halfLds_half_ip_CI_sbrr_dirReg
    .private_segment_fixed_size: 0
    .sgpr_count:     28
    .sgpr_spill_count: 0
    .symbol:         fft_rtc_fwd_len540_factors_3_10_6_3_wgs_216_tpt_54_halfLds_half_ip_CI_sbrr_dirReg.kd
    .uniform_work_group_size: 1
    .uses_dynamic_stack: false
    .vgpr_count:     60
    .vgpr_spill_count: 0
    .wavefront_size: 64
amdhsa.target:   amdgcn-amd-amdhsa--gfx906
amdhsa.version:
  - 1
  - 2
...

	.end_amdgpu_metadata
